;; amdgpu-corpus repo=ROCm/rocFFT kind=compiled arch=gfx1030 opt=O3
	.text
	.amdgcn_target "amdgcn-amd-amdhsa--gfx1030"
	.amdhsa_code_object_version 6
	.protected	fft_rtc_fwd_len72_factors_8_3_3_wgs_63_tpt_9_halfLds_sp_ip_CI_unitstride_sbrr_C2R_dirReg ; -- Begin function fft_rtc_fwd_len72_factors_8_3_3_wgs_63_tpt_9_halfLds_sp_ip_CI_unitstride_sbrr_C2R_dirReg
	.globl	fft_rtc_fwd_len72_factors_8_3_3_wgs_63_tpt_9_halfLds_sp_ip_CI_unitstride_sbrr_C2R_dirReg
	.p2align	8
	.type	fft_rtc_fwd_len72_factors_8_3_3_wgs_63_tpt_9_halfLds_sp_ip_CI_unitstride_sbrr_C2R_dirReg,@function
fft_rtc_fwd_len72_factors_8_3_3_wgs_63_tpt_9_halfLds_sp_ip_CI_unitstride_sbrr_C2R_dirReg: ; @fft_rtc_fwd_len72_factors_8_3_3_wgs_63_tpt_9_halfLds_sp_ip_CI_unitstride_sbrr_C2R_dirReg
; %bb.0:
	s_load_dwordx4 s[8:11], s[4:5], 0x0
	v_mul_u32_u24_e32 v1, 0x1c72, v0
	s_clause 0x1
	s_load_dwordx2 s[2:3], s[4:5], 0x50
	s_load_dwordx2 s[12:13], s[4:5], 0x18
	v_mov_b32_e32 v5, 0
	v_mov_b32_e32 v3, 0
	;; [unrolled: 1-line block ×3, first 2 shown]
	v_lshrrev_b32_e32 v1, 16, v1
	v_mad_u64_u32 v[1:2], null, s6, 7, v[1:2]
	v_mov_b32_e32 v2, v5
	v_mov_b32_e32 v10, v2
	;; [unrolled: 1-line block ×3, first 2 shown]
	s_waitcnt lgkmcnt(0)
	v_cmp_lt_u64_e64 s0, s[10:11], 2
	s_and_b32 vcc_lo, exec_lo, s0
	s_cbranch_vccnz .LBB0_8
; %bb.1:
	s_load_dwordx2 s[0:1], s[4:5], 0x10
	v_mov_b32_e32 v3, 0
	v_mov_b32_e32 v8, v2
	s_add_u32 s6, s12, 8
	v_mov_b32_e32 v4, 0
	v_mov_b32_e32 v7, v1
	s_addc_u32 s7, s13, 0
	s_mov_b64 s[16:17], 1
	s_waitcnt lgkmcnt(0)
	s_add_u32 s14, s0, 8
	s_addc_u32 s15, s1, 0
.LBB0_2:                                ; =>This Inner Loop Header: Depth=1
	s_load_dwordx2 s[18:19], s[14:15], 0x0
                                        ; implicit-def: $vgpr9_vgpr10
	s_mov_b32 s0, exec_lo
	s_waitcnt lgkmcnt(0)
	v_or_b32_e32 v6, s19, v8
	v_cmpx_ne_u64_e32 0, v[5:6]
	s_xor_b32 s1, exec_lo, s0
	s_cbranch_execz .LBB0_4
; %bb.3:                                ;   in Loop: Header=BB0_2 Depth=1
	v_cvt_f32_u32_e32 v2, s18
	v_cvt_f32_u32_e32 v6, s19
	s_sub_u32 s0, 0, s18
	s_subb_u32 s20, 0, s19
	v_fmac_f32_e32 v2, 0x4f800000, v6
	v_rcp_f32_e32 v2, v2
	v_mul_f32_e32 v2, 0x5f7ffffc, v2
	v_mul_f32_e32 v6, 0x2f800000, v2
	v_trunc_f32_e32 v6, v6
	v_fmac_f32_e32 v2, 0xcf800000, v6
	v_cvt_u32_f32_e32 v6, v6
	v_cvt_u32_f32_e32 v2, v2
	v_mul_lo_u32 v9, s0, v6
	v_mul_hi_u32 v10, s0, v2
	v_mul_lo_u32 v11, s20, v2
	v_add_nc_u32_e32 v9, v10, v9
	v_mul_lo_u32 v10, s0, v2
	v_add_nc_u32_e32 v9, v9, v11
	v_mul_hi_u32 v11, v2, v10
	v_mul_lo_u32 v12, v2, v9
	v_mul_hi_u32 v13, v2, v9
	v_mul_hi_u32 v14, v6, v10
	v_mul_lo_u32 v10, v6, v10
	v_mul_hi_u32 v15, v6, v9
	v_mul_lo_u32 v9, v6, v9
	v_add_co_u32 v11, vcc_lo, v11, v12
	v_add_co_ci_u32_e32 v12, vcc_lo, 0, v13, vcc_lo
	v_add_co_u32 v10, vcc_lo, v11, v10
	v_add_co_ci_u32_e32 v10, vcc_lo, v12, v14, vcc_lo
	v_add_co_ci_u32_e32 v11, vcc_lo, 0, v15, vcc_lo
	v_add_co_u32 v9, vcc_lo, v10, v9
	v_add_co_ci_u32_e32 v10, vcc_lo, 0, v11, vcc_lo
	v_add_co_u32 v2, vcc_lo, v2, v9
	v_add_co_ci_u32_e32 v6, vcc_lo, v6, v10, vcc_lo
	v_mul_hi_u32 v9, s0, v2
	v_mul_lo_u32 v11, s20, v2
	v_mul_lo_u32 v10, s0, v6
	v_add_nc_u32_e32 v9, v9, v10
	v_mul_lo_u32 v10, s0, v2
	v_add_nc_u32_e32 v9, v9, v11
	v_mul_hi_u32 v11, v2, v10
	v_mul_lo_u32 v12, v2, v9
	v_mul_hi_u32 v13, v2, v9
	v_mul_hi_u32 v14, v6, v10
	v_mul_lo_u32 v10, v6, v10
	v_mul_hi_u32 v15, v6, v9
	v_mul_lo_u32 v9, v6, v9
	v_add_co_u32 v11, vcc_lo, v11, v12
	v_add_co_ci_u32_e32 v12, vcc_lo, 0, v13, vcc_lo
	v_add_co_u32 v10, vcc_lo, v11, v10
	v_add_co_ci_u32_e32 v10, vcc_lo, v12, v14, vcc_lo
	v_add_co_ci_u32_e32 v11, vcc_lo, 0, v15, vcc_lo
	v_add_co_u32 v9, vcc_lo, v10, v9
	v_add_co_ci_u32_e32 v10, vcc_lo, 0, v11, vcc_lo
	v_add_co_u32 v2, vcc_lo, v2, v9
	v_add_co_ci_u32_e32 v6, vcc_lo, v6, v10, vcc_lo
	v_mul_hi_u32 v15, v7, v2
	v_mad_u64_u32 v[11:12], null, v8, v2, 0
	v_mad_u64_u32 v[9:10], null, v7, v6, 0
	v_mad_u64_u32 v[13:14], null, v8, v6, 0
	v_add_co_u32 v2, vcc_lo, v15, v9
	v_add_co_ci_u32_e32 v6, vcc_lo, 0, v10, vcc_lo
	v_add_co_u32 v2, vcc_lo, v2, v11
	v_add_co_ci_u32_e32 v2, vcc_lo, v6, v12, vcc_lo
	v_add_co_ci_u32_e32 v6, vcc_lo, 0, v14, vcc_lo
	v_add_co_u32 v2, vcc_lo, v2, v13
	v_add_co_ci_u32_e32 v6, vcc_lo, 0, v6, vcc_lo
	v_mul_lo_u32 v11, s19, v2
	v_mad_u64_u32 v[9:10], null, s18, v2, 0
	v_mul_lo_u32 v12, s18, v6
	v_sub_co_u32 v9, vcc_lo, v7, v9
	v_add3_u32 v10, v10, v12, v11
	v_sub_nc_u32_e32 v11, v8, v10
	v_subrev_co_ci_u32_e64 v11, s0, s19, v11, vcc_lo
	v_add_co_u32 v12, s0, v2, 2
	v_add_co_ci_u32_e64 v13, s0, 0, v6, s0
	v_sub_co_u32 v14, s0, v9, s18
	v_sub_co_ci_u32_e32 v10, vcc_lo, v8, v10, vcc_lo
	v_subrev_co_ci_u32_e64 v11, s0, 0, v11, s0
	v_cmp_le_u32_e32 vcc_lo, s18, v14
	v_cmp_eq_u32_e64 s0, s19, v10
	v_cndmask_b32_e64 v14, 0, -1, vcc_lo
	v_cmp_le_u32_e32 vcc_lo, s19, v11
	v_cndmask_b32_e64 v15, 0, -1, vcc_lo
	v_cmp_le_u32_e32 vcc_lo, s18, v9
	;; [unrolled: 2-line block ×3, first 2 shown]
	v_cndmask_b32_e64 v16, 0, -1, vcc_lo
	v_cmp_eq_u32_e32 vcc_lo, s19, v11
	v_cndmask_b32_e64 v9, v16, v9, s0
	v_cndmask_b32_e32 v11, v15, v14, vcc_lo
	v_add_co_u32 v14, vcc_lo, v2, 1
	v_add_co_ci_u32_e32 v15, vcc_lo, 0, v6, vcc_lo
	v_cmp_ne_u32_e32 vcc_lo, 0, v11
	v_cndmask_b32_e32 v10, v15, v13, vcc_lo
	v_cndmask_b32_e32 v11, v14, v12, vcc_lo
	v_cmp_ne_u32_e32 vcc_lo, 0, v9
	v_cndmask_b32_e32 v10, v6, v10, vcc_lo
	v_cndmask_b32_e32 v9, v2, v11, vcc_lo
.LBB0_4:                                ;   in Loop: Header=BB0_2 Depth=1
	s_andn2_saveexec_b32 s0, s1
	s_cbranch_execz .LBB0_6
; %bb.5:                                ;   in Loop: Header=BB0_2 Depth=1
	v_cvt_f32_u32_e32 v2, s18
	s_sub_i32 s1, 0, s18
	v_rcp_iflag_f32_e32 v2, v2
	v_mul_f32_e32 v2, 0x4f7ffffe, v2
	v_cvt_u32_f32_e32 v2, v2
	v_mul_lo_u32 v6, s1, v2
	v_mul_hi_u32 v6, v2, v6
	v_add_nc_u32_e32 v2, v2, v6
	v_mul_hi_u32 v2, v7, v2
	v_mul_lo_u32 v6, v2, s18
	v_add_nc_u32_e32 v9, 1, v2
	v_sub_nc_u32_e32 v6, v7, v6
	v_subrev_nc_u32_e32 v10, s18, v6
	v_cmp_le_u32_e32 vcc_lo, s18, v6
	v_cndmask_b32_e32 v6, v6, v10, vcc_lo
	v_cndmask_b32_e32 v2, v2, v9, vcc_lo
	v_mov_b32_e32 v10, v5
	v_cmp_le_u32_e32 vcc_lo, s18, v6
	v_add_nc_u32_e32 v9, 1, v2
	v_cndmask_b32_e32 v9, v2, v9, vcc_lo
.LBB0_6:                                ;   in Loop: Header=BB0_2 Depth=1
	s_or_b32 exec_lo, exec_lo, s0
	s_load_dwordx2 s[0:1], s[6:7], 0x0
	v_mul_lo_u32 v2, v10, s18
	v_mul_lo_u32 v6, v9, s19
	v_mad_u64_u32 v[11:12], null, v9, s18, 0
	s_add_u32 s16, s16, 1
	s_addc_u32 s17, s17, 0
	s_add_u32 s6, s6, 8
	s_addc_u32 s7, s7, 0
	;; [unrolled: 2-line block ×3, first 2 shown]
	v_add3_u32 v2, v12, v6, v2
	v_sub_co_u32 v6, vcc_lo, v7, v11
	v_sub_co_ci_u32_e32 v2, vcc_lo, v8, v2, vcc_lo
	s_waitcnt lgkmcnt(0)
	v_mul_lo_u32 v7, s1, v6
	v_mul_lo_u32 v2, s0, v2
	v_mad_u64_u32 v[3:4], null, s0, v6, v[3:4]
	v_cmp_ge_u64_e64 s0, s[16:17], s[10:11]
	s_and_b32 vcc_lo, exec_lo, s0
	v_add3_u32 v4, v7, v4, v2
	s_cbranch_vccnz .LBB0_8
; %bb.7:                                ;   in Loop: Header=BB0_2 Depth=1
	v_mov_b32_e32 v7, v9
	v_mov_b32_e32 v8, v10
	s_branch .LBB0_2
.LBB0_8:
	v_mul_hi_u32 v2, 0x24924925, v1
	s_lshl_b64 s[0:1], s[10:11], 3
	s_load_dwordx2 s[4:5], s[4:5], 0x20
	s_add_u32 s0, s12, s0
	s_addc_u32 s1, s13, s1
	v_mul_hi_u32 v7, 0x1c71c71d, v0
	s_load_dwordx2 s[0:1], s[0:1], 0x0
	v_sub_nc_u32_e32 v5, v1, v2
	v_mul_u32_u24_e32 v7, 9, v7
	v_lshrrev_b32_e32 v5, 1, v5
	v_sub_nc_u32_e32 v14, v0, v7
	v_add_nc_u32_e32 v2, v5, v2
	s_waitcnt lgkmcnt(0)
	v_cmp_gt_u64_e32 vcc_lo, s[4:5], v[9:10]
	v_lshrrev_b32_e32 v2, 2, v2
	v_mul_lo_u32 v5, s0, v10
	v_mul_lo_u32 v6, s1, v9
	v_mad_u64_u32 v[3:4], null, s0, v9, v[3:4]
	v_mul_lo_u32 v2, v2, 7
	v_add3_u32 v4, v6, v4, v5
	v_sub_nc_u32_e32 v1, v1, v2
	v_lshlrev_b64 v[16:17], 3, v[3:4]
	v_mul_u32_u24_e32 v2, 0x49, v1
	v_lshlrev_b32_e32 v25, 3, v2
	s_and_saveexec_b32 s1, vcc_lo
	s_cbranch_execz .LBB0_12
; %bb.9:
	v_mov_b32_e32 v15, 0
	v_add_co_u32 v0, s0, s2, v16
	v_add_co_ci_u32_e64 v1, s0, s3, v17, s0
	v_lshlrev_b64 v[3:4], 3, v[14:15]
	s_mov_b32 s4, exec_lo
	v_add_co_u32 v3, s0, v0, v3
	v_add_co_ci_u32_e64 v4, s0, v1, v4, s0
	s_clause 0x7
	global_load_dwordx2 v[5:6], v[3:4], off
	global_load_dwordx2 v[7:8], v[3:4], off offset:72
	global_load_dwordx2 v[9:10], v[3:4], off offset:144
	;; [unrolled: 1-line block ×7, first 2 shown]
	v_lshlrev_b32_e32 v3, 3, v14
	v_add3_u32 v3, 0, v25, v3
	s_waitcnt vmcnt(6)
	ds_write2_b64 v3, v[5:6], v[7:8] offset1:9
	s_waitcnt vmcnt(4)
	ds_write2_b64 v3, v[9:10], v[11:12] offset0:18 offset1:27
	s_waitcnt vmcnt(2)
	ds_write2_b64 v3, v[18:19], v[20:21] offset0:36 offset1:45
	;; [unrolled: 2-line block ×3, first 2 shown]
	v_cmpx_eq_u32_e32 8, v14
	s_cbranch_execz .LBB0_11
; %bb.10:
	global_load_dwordx2 v[0:1], v[0:1], off offset:576
	v_mov_b32_e32 v14, 8
	s_waitcnt vmcnt(0)
	ds_write_b64 v3, v[0:1] offset:512
.LBB0_11:
	s_or_b32 exec_lo, exec_lo, s4
.LBB0_12:
	s_or_b32 exec_lo, exec_lo, s1
	v_lshl_add_u32 v24, v2, 3, 0
	v_lshlrev_b32_e32 v0, 3, v14
	s_waitcnt lgkmcnt(0)
	s_barrier
	buffer_gl0_inv
	s_mov_b32 s1, exec_lo
	v_add_nc_u32_e32 v22, v24, v0
	v_sub_nc_u32_e32 v4, v24, v0
	ds_read_b32 v1, v22
	ds_read_b32 v2, v4 offset:576
	s_waitcnt lgkmcnt(0)
	v_add_f32_e32 v0, v2, v1
	v_sub_f32_e32 v1, v1, v2
                                        ; implicit-def: $vgpr2_vgpr3
	v_cmpx_ne_u32_e32 0, v14
	s_xor_b32 s1, exec_lo, s1
	s_cbranch_execz .LBB0_14
; %bb.13:
	v_mov_b32_e32 v15, 0
	v_lshlrev_b64 v[2:3], 3, v[14:15]
	v_add_co_u32 v2, s0, s8, v2
	v_add_co_ci_u32_e64 v3, s0, s9, v3, s0
	global_load_dwordx2 v[2:3], v[2:3], off offset:512
	ds_read_b32 v5, v4 offset:580
	ds_read_b32 v6, v22 offset:4
	s_waitcnt lgkmcnt(0)
	v_add_f32_e32 v9, v5, v6
	v_sub_f32_e32 v5, v6, v5
	s_waitcnt vmcnt(0)
	v_fma_f32 v10, v1, v3, v0
	v_fma_f32 v6, v9, v3, v5
	v_fma_f32 v7, -v1, v3, v0
	v_fma_f32 v8, v9, v3, -v5
                                        ; implicit-def: $vgpr0
	v_fma_f32 v5, -v2, v9, v10
	v_fmac_f32_e32 v6, v1, v2
	v_fmac_f32_e32 v7, v2, v9
	;; [unrolled: 1-line block ×3, first 2 shown]
	v_mov_b32_e32 v2, v14
	v_mov_b32_e32 v3, v15
	ds_write_b64 v22, v[5:6]
	ds_write_b64 v4, v[7:8] offset:576
.LBB0_14:
	s_andn2_saveexec_b32 s0, s1
	s_cbranch_execz .LBB0_16
; %bb.15:
	ds_write_b64 v22, v[0:1]
	ds_read_b64 v[0:1], v24 offset:288
	v_mov_b32_e32 v2, 0
	v_mov_b32_e32 v3, 0
	s_waitcnt lgkmcnt(0)
	v_add_f32_e32 v0, v0, v0
	v_mul_f32_e32 v1, -2.0, v1
	ds_write_b64 v24, v[0:1] offset:288
.LBB0_16:
	s_or_b32 exec_lo, exec_lo, s0
	v_lshlrev_b64 v[0:1], 3, v[2:3]
	s_add_u32 s0, s8, 0x200
	s_addc_u32 s1, s9, 0
	v_xor_b32_e32 v7, 63, v14
	v_lshl_add_u32 v20, v14, 3, 0
	v_add_co_u32 v0, s0, s0, v0
	v_add_co_ci_u32_e64 v1, s0, s1, v1, s0
	v_lshl_add_u32 v11, v7, 3, v24
	v_mad_u32_u24 v26, v14, 56, v20
	v_cmp_gt_u32_e64 s0, 6, v14
	s_clause 0x2
	global_load_dwordx2 v[2:3], v[0:1], off offset:72
	global_load_dwordx2 v[5:6], v[0:1], off offset:144
	;; [unrolled: 1-line block ×3, first 2 shown]
	ds_read_b64 v[7:8], v22 offset:72
	ds_read_b64 v[9:10], v11
	s_waitcnt lgkmcnt(0)
	v_add_f32_e32 v12, v7, v9
	v_add_f32_e32 v13, v10, v8
	v_sub_f32_e32 v15, v7, v9
	v_sub_f32_e32 v7, v8, v10
	s_waitcnt vmcnt(2)
	v_fma_f32 v18, v15, v3, v12
	v_fma_f32 v8, v13, v3, v7
	v_fma_f32 v9, -v15, v3, v12
	v_fma_f32 v10, v13, v3, -v7
	v_fma_f32 v7, -v2, v13, v18
	v_fmac_f32_e32 v8, v15, v2
	v_fmac_f32_e32 v9, v2, v13
	;; [unrolled: 1-line block ×3, first 2 shown]
	v_add_nc_u32_e32 v15, v20, v25
	ds_write_b64 v22, v[7:8] offset:72
	ds_write_b64 v11, v[9:10]
	ds_read_b64 v[2:3], v22 offset:144
	ds_read_b64 v[7:8], v4 offset:432
	v_add_nc_u32_e32 v20, v26, v25
	s_waitcnt lgkmcnt(0)
	v_add_f32_e32 v9, v2, v7
	v_add_f32_e32 v10, v8, v3
	v_sub_f32_e32 v11, v2, v7
	v_sub_f32_e32 v2, v3, v8
	s_waitcnt vmcnt(1)
	v_fma_f32 v12, v11, v6, v9
	v_fma_f32 v3, v10, v6, v2
	v_fma_f32 v7, -v11, v6, v9
	v_fma_f32 v8, v10, v6, -v2
	v_fma_f32 v2, -v5, v10, v12
	v_fmac_f32_e32 v3, v11, v5
	v_fmac_f32_e32 v7, v5, v10
	;; [unrolled: 1-line block ×3, first 2 shown]
	ds_write_b64 v22, v[2:3] offset:144
	ds_write_b64 v4, v[7:8] offset:432
	ds_read_b64 v[2:3], v22 offset:216
	ds_read_b64 v[5:6], v4 offset:360
	s_waitcnt lgkmcnt(0)
	v_add_f32_e32 v7, v2, v5
	v_add_f32_e32 v8, v6, v3
	v_sub_f32_e32 v9, v2, v5
	v_sub_f32_e32 v3, v3, v6
	s_waitcnt vmcnt(0)
	v_fma_f32 v10, v9, v1, v7
	v_fma_f32 v2, v8, v1, v3
	v_fma_f32 v5, -v9, v1, v7
	v_fma_f32 v6, v8, v1, -v3
	v_fma_f32 v1, -v0, v8, v10
	v_fmac_f32_e32 v2, v9, v0
	v_fmac_f32_e32 v5, v0, v8
	;; [unrolled: 1-line block ×3, first 2 shown]
	ds_write_b64 v22, v[1:2] offset:216
	ds_write_b64 v4, v[5:6] offset:360
	s_waitcnt lgkmcnt(0)
	s_barrier
	buffer_gl0_inv
	s_barrier
	buffer_gl0_inv
	ds_read2_b64 v[0:3], v15 offset0:27 offset1:36
	ds_read_b64 v[12:13], v22
	ds_read2_b64 v[4:7], v15 offset0:9 offset1:18
	ds_read2_b64 v[8:11], v15 offset0:45 offset1:54
	ds_read_b64 v[18:19], v15 offset:504
	s_waitcnt lgkmcnt(0)
	s_barrier
	buffer_gl0_inv
	v_sub_f32_e32 v2, v12, v2
	v_sub_f32_e32 v3, v13, v3
	;; [unrolled: 1-line block ×8, first 2 shown]
	v_fma_f32 v12, v12, 2.0, -v2
	v_fma_f32 v13, v13, 2.0, -v3
	;; [unrolled: 1-line block ×8, first 2 shown]
	v_sub_f32_e32 v11, v2, v11
	v_add_f32_e32 v21, v3, v10
	v_sub_f32_e32 v10, v8, v19
	v_add_f32_e32 v18, v9, v18
	v_sub_f32_e32 v19, v12, v6
	v_sub_f32_e32 v23, v13, v7
	v_fma_f32 v27, v2, 2.0, -v11
	v_fma_f32 v28, v3, 2.0, -v21
	v_sub_f32_e32 v6, v4, v0
	v_sub_f32_e32 v0, v5, v1
	v_fma_f32 v8, v8, 2.0, -v10
	v_fma_f32 v9, v9, 2.0, -v18
	v_fmamk_f32 v2, v10, 0x3f3504f3, v11
	v_fmamk_f32 v3, v18, 0x3f3504f3, v21
	v_fma_f32 v12, v12, 2.0, -v19
	v_fma_f32 v13, v13, 2.0, -v23
	;; [unrolled: 1-line block ×4, first 2 shown]
	v_fmamk_f32 v4, v8, 0xbf3504f3, v27
	v_fmamk_f32 v5, v9, 0xbf3504f3, v28
	v_sub_f32_e32 v0, v19, v0
	v_add_f32_e32 v1, v23, v6
	v_fmac_f32_e32 v2, 0xbf3504f3, v18
	v_fmac_f32_e32 v3, 0x3f3504f3, v10
	v_sub_f32_e32 v6, v12, v7
	v_sub_f32_e32 v7, v13, v29
	v_fmac_f32_e32 v4, 0xbf3504f3, v9
	v_fmac_f32_e32 v5, 0x3f3504f3, v8
	v_fma_f32 v8, v19, 2.0, -v0
	v_fma_f32 v9, v23, 2.0, -v1
	;; [unrolled: 1-line block ×8, first 2 shown]
	ds_write2_b64 v20, v[0:1], v[2:3] offset0:6 offset1:7
	ds_write2_b64 v20, v[8:9], v[10:11] offset0:2 offset1:3
	;; [unrolled: 1-line block ×3, first 2 shown]
	ds_write2_b64 v20, v[12:13], v[18:19] offset1:1
	s_waitcnt lgkmcnt(0)
	s_barrier
	buffer_gl0_inv
	ds_read2_b64 v[6:9], v15 offset0:9 offset1:24
	ds_read_b64 v[18:19], v22
	ds_read_b64 v[4:5], v15 offset:456
	s_waitcnt lgkmcnt(1)
	ds_read_b32 v19, v22 offset:4
	ds_read2_b64 v[10:13], v15 offset0:33 offset1:48
                                        ; implicit-def: $vgpr21
	s_and_saveexec_b32 s1, s0
	s_cbranch_execz .LBB0_18
; %bb.17:
	ds_read2_b64 v[0:3], v15 offset0:18 offset1:42
	ds_read_b64 v[20:21], v15 offset:528
.LBB0_18:
	s_or_b32 exec_lo, exec_lo, s1
	v_and_b32_e32 v41, 7, v14
	v_add_nc_u32_e32 v28, 9, v14
	v_add_nc_u32_e32 v27, 18, v14
	v_lshrrev_b32_e32 v43, 3, v14
	v_lshlrev_b32_e32 v23, 4, v41
	v_and_b32_e32 v42, 7, v28
	v_lshrrev_b32_e32 v44, 3, v28
	v_mul_u32_u24_e32 v43, 24, v43
	global_load_dwordx4 v[29:32], v23, s[8:9]
	v_and_b32_e32 v23, 7, v27
	v_lshlrev_b32_e32 v33, 4, v42
	v_or_b32_e32 v41, v43, v41
	v_mul_u32_u24_e32 v43, 24, v44
	v_lshlrev_b32_e32 v37, 4, v23
	s_clause 0x1
	global_load_dwordx4 v[33:36], v33, s[8:9]
	global_load_dwordx4 v[37:40], v37, s[8:9]
	v_or_b32_e32 v42, v43, v42
	v_lshlrev_b32_e32 v41, 3, v41
	s_waitcnt vmcnt(0) lgkmcnt(0)
	s_barrier
	buffer_gl0_inv
	v_lshlrev_b32_e32 v42, 3, v42
	v_add3_u32 v41, 0, v41, v25
	v_add3_u32 v42, 0, v42, v25
	v_mul_f32_e32 v43, v30, v9
	v_mul_f32_e32 v30, v30, v8
	v_mul_f32_e32 v44, v32, v13
	v_mul_f32_e32 v32, v32, v12
	v_fma_f32 v8, v29, v8, -v43
	v_fmac_f32_e32 v30, v29, v9
	v_fma_f32 v9, v31, v12, -v44
	v_fmac_f32_e32 v32, v31, v13
	v_mul_f32_e32 v12, v34, v11
	v_mul_f32_e32 v13, v34, v10
	;; [unrolled: 1-line block ×8, first 2 shown]
	v_fma_f32 v10, v33, v10, -v12
	v_fma_f32 v2, v2, v37, -v34
	v_fmac_f32_e32 v36, v3, v37
	v_fma_f32 v3, v20, v39, -v38
	v_fmac_f32_e32 v40, v21, v39
	v_fmac_f32_e32 v13, v33, v11
	v_fma_f32 v4, v35, v4, -v29
	v_fmac_f32_e32 v31, v35, v5
	v_add_f32_e32 v5, v8, v18
	v_add_f32_e32 v20, v19, v30
	;; [unrolled: 1-line block ×5, first 2 shown]
	v_sub_f32_e32 v37, v36, v40
	v_add_f32_e32 v38, v1, v36
	v_add_f32_e32 v36, v36, v40
	v_sub_f32_e32 v12, v30, v32
	v_sub_f32_e32 v29, v8, v9
	v_add_f32_e32 v8, v5, v9
	v_add_f32_e32 v9, v20, v32
	;; [unrolled: 1-line block ×4, first 2 shown]
	v_fmac_f32_e32 v18, -0.5, v11
	v_fmac_f32_e32 v19, -0.5, v21
	v_add_f32_e32 v5, v6, v10
	v_add_f32_e32 v34, v0, v2
	v_sub_f32_e32 v39, v2, v3
	v_fmac_f32_e32 v0, -0.5, v35
	v_fmac_f32_e32 v1, -0.5, v36
	v_sub_f32_e32 v21, v13, v31
	v_add_f32_e32 v30, v7, v13
	v_sub_f32_e32 v33, v10, v4
	v_fma_f32 v6, -0.5, v20, v6
	v_fmac_f32_e32 v7, -0.5, v32
	v_fmamk_f32 v10, v12, 0x3f5db3d7, v18
	v_fmac_f32_e32 v18, 0xbf5db3d7, v12
	v_fmamk_f32 v11, v29, 0xbf5db3d7, v19
	v_add_f32_e32 v12, v5, v4
	v_add_f32_e32 v2, v34, v3
	;; [unrolled: 1-line block ×3, first 2 shown]
	v_fmamk_f32 v4, v37, 0x3f5db3d7, v0
	v_fmac_f32_e32 v0, 0xbf5db3d7, v37
	v_fmamk_f32 v5, v39, 0xbf5db3d7, v1
	v_fmac_f32_e32 v1, 0x3f5db3d7, v39
	v_fmac_f32_e32 v19, 0x3f5db3d7, v29
	v_add_f32_e32 v13, v30, v31
	v_fmamk_f32 v20, v21, 0x3f5db3d7, v6
	v_fmac_f32_e32 v6, 0xbf5db3d7, v21
	v_fmamk_f32 v21, v33, 0xbf5db3d7, v7
	v_fmac_f32_e32 v7, 0x3f5db3d7, v33
	ds_write2_b64 v41, v[8:9], v[10:11] offset1:8
	ds_write_b64 v41, v[18:19] offset:128
	ds_write2_b64 v42, v[12:13], v[20:21] offset1:8
	ds_write_b64 v42, v[6:7] offset:128
	s_and_saveexec_b32 s1, s0
	s_cbranch_execz .LBB0_20
; %bb.19:
	v_lshlrev_b32_e32 v6, 3, v23
	v_lshl_or_b32 v7, v27, 3, 0x1c0
	v_add3_u32 v6, 0, v6, v25
	v_add3_u32 v7, 0, v7, v25
	ds_write_b64 v6, v[2:3] offset:384
	ds_write_b64 v7, v[4:5]
	ds_write_b64 v6, v[0:1] offset:512
.LBB0_20:
	s_or_b32 exec_lo, exec_lo, s1
	s_waitcnt lgkmcnt(0)
	s_barrier
	buffer_gl0_inv
	ds_read2_b64 v[6:9], v15 offset0:9 offset1:24
	ds_read2_b64 v[10:13], v15 offset0:33 offset1:48
	ds_read_b64 v[18:19], v22
	ds_read_b64 v[22:23], v15 offset:456
	s_and_saveexec_b32 s1, s0
	s_cbranch_execz .LBB0_22
; %bb.21:
	ds_read2_b64 v[2:5], v15 offset0:18 offset1:42
	ds_read_b64 v[0:1], v15 offset:528
.LBB0_22:
	s_or_b32 exec_lo, exec_lo, s1
	v_lshlrev_b32_e32 v20, 1, v14
	v_mov_b32_e32 v21, 0
	v_lshlrev_b64 v[29:30], 3, v[20:21]
	v_lshlrev_b32_e32 v20, 1, v28
	v_lshlrev_b64 v[32:33], 3, v[20:21]
	v_add_co_u32 v28, s1, s8, v29
	v_add_co_ci_u32_e64 v29, s1, s9, v30, s1
	v_mul_i32_i24_e32 v20, 0xffffffc8, v14
	v_add_co_u32 v32, s1, s8, v32
	global_load_dwordx4 v[28:31], v[28:29], off offset:128
	v_add_co_ci_u32_e64 v33, s1, s9, v33, s1
	v_add3_u32 v20, v26, v20, v25
	global_load_dwordx4 v[32:35], v[32:33], off offset:128
	s_waitcnt vmcnt(0) lgkmcnt(0)
	s_barrier
	buffer_gl0_inv
	v_mul_f32_e32 v25, v29, v9
	v_mul_f32_e32 v26, v29, v8
	;; [unrolled: 1-line block ×4, first 2 shown]
	v_fma_f32 v8, v28, v8, -v25
	v_fmac_f32_e32 v26, v28, v9
	v_fma_f32 v9, v30, v12, -v29
	v_mul_f32_e32 v12, v33, v11
	v_mul_f32_e32 v25, v33, v10
	;; [unrolled: 1-line block ×4, first 2 shown]
	v_fmac_f32_e32 v31, v30, v13
	v_fma_f32 v10, v32, v10, -v12
	v_fmac_f32_e32 v25, v32, v11
	v_fma_f32 v12, v34, v22, -v28
	v_fmac_f32_e32 v29, v34, v23
	v_add_f32_e32 v11, v8, v18
	v_sub_f32_e32 v22, v26, v31
	v_add_f32_e32 v23, v26, v19
	v_add_f32_e32 v26, v26, v31
	;; [unrolled: 1-line block ×3, first 2 shown]
	v_sub_f32_e32 v28, v8, v9
	v_add_f32_e32 v8, v11, v9
	v_add_f32_e32 v9, v23, v31
	v_fmac_f32_e32 v19, -0.5, v26
	v_add_f32_e32 v23, v10, v12
	v_sub_f32_e32 v26, v25, v29
	v_add_f32_e32 v30, v7, v25
	v_add_f32_e32 v25, v25, v29
	v_fma_f32 v18, -0.5, v13, v18
	v_add_f32_e32 v13, v6, v10
	v_sub_f32_e32 v31, v10, v12
	v_fma_f32 v6, -0.5, v23, v6
	v_fmac_f32_e32 v7, -0.5, v25
	v_fmamk_f32 v10, v22, 0x3f5db3d7, v18
	v_fmac_f32_e32 v18, 0xbf5db3d7, v22
	v_fmamk_f32 v11, v28, 0xbf5db3d7, v19
	v_fmac_f32_e32 v19, 0x3f5db3d7, v28
	v_add_f32_e32 v12, v13, v12
	v_add_f32_e32 v13, v30, v29
	v_fmamk_f32 v22, v26, 0x3f5db3d7, v6
	v_fmamk_f32 v23, v31, 0xbf5db3d7, v7
	v_fmac_f32_e32 v6, 0xbf5db3d7, v26
	v_fmac_f32_e32 v7, 0x3f5db3d7, v31
	ds_write2_b64 v15, v[10:11], v[18:19] offset0:24 offset1:48
	ds_write2_b64 v15, v[8:9], v[12:13] offset1:9
	ds_write2_b32 v20, v22, v23 offset0:66 offset1:67
	ds_write2_b32 v20, v6, v7 offset0:114 offset1:115
	s_and_saveexec_b32 s1, s0
	s_cbranch_execz .LBB0_24
; %bb.23:
	v_add_nc_u32_e32 v6, -6, v14
	v_cndmask_b32_e64 v6, v6, v27, s0
	v_lshlrev_b32_e32 v20, 1, v6
	v_lshlrev_b64 v[6:7], 3, v[20:21]
	v_add_co_u32 v6, s0, s8, v6
	v_add_co_ci_u32_e64 v7, s0, s9, v7, s0
	global_load_dwordx4 v[6:9], v[6:7], off offset:128
	s_waitcnt vmcnt(0)
	v_mul_f32_e32 v10, v0, v9
	v_mul_f32_e32 v11, v4, v7
	;; [unrolled: 1-line block ×4, first 2 shown]
	v_fmac_f32_e32 v10, v1, v8
	v_fmac_f32_e32 v11, v5, v6
	v_fma_f32 v1, v4, v6, -v7
	v_fma_f32 v0, v0, v8, -v9
	v_add_f32_e32 v4, v11, v10
	v_add_f32_e32 v5, v3, v11
	;; [unrolled: 1-line block ×4, first 2 shown]
	v_sub_f32_e32 v8, v1, v0
	v_fmac_f32_e32 v3, -0.5, v4
	v_sub_f32_e32 v9, v11, v10
	v_fmac_f32_e32 v2, -0.5, v6
	v_add_f32_e32 v1, v5, v10
	v_add_f32_e32 v0, v7, v0
	v_fmamk_f32 v5, v8, 0x3f5db3d7, v3
	v_fmac_f32_e32 v3, 0xbf5db3d7, v8
	v_fmamk_f32 v4, v9, 0xbf5db3d7, v2
	v_fmac_f32_e32 v2, 0x3f5db3d7, v9
	ds_write2_b64 v15, v[0:1], v[2:3] offset0:18 offset1:42
	ds_write_b64 v15, v[4:5] offset:528
.LBB0_24:
	s_or_b32 exec_lo, exec_lo, s1
	s_waitcnt lgkmcnt(0)
	s_barrier
	buffer_gl0_inv
	s_and_saveexec_b32 s0, vcc_lo
	s_cbranch_execz .LBB0_26
; %bb.25:
	v_mov_b32_e32 v15, 0
	v_lshl_add_u32 v20, v14, 3, v24
	v_add_nc_u32_e32 v4, 9, v14
	v_add_co_u32 v21, vcc_lo, s2, v16
	v_mov_b32_e32 v5, v15
	ds_read2_b64 v[0:3], v20 offset1:9
	v_lshlrev_b64 v[8:9], 3, v[14:15]
	v_add_nc_u32_e32 v12, 18, v14
	v_mov_b32_e32 v13, v15
	v_lshlrev_b64 v[10:11], 3, v[4:5]
	ds_read2_b64 v[4:7], v20 offset0:18 offset1:27
	v_add_co_ci_u32_e32 v22, vcc_lo, s3, v17, vcc_lo
	v_add_co_u32 v8, vcc_lo, v21, v8
	v_lshlrev_b64 v[12:13], 3, v[12:13]
	v_add_co_ci_u32_e32 v9, vcc_lo, v22, v9, vcc_lo
	v_add_co_u32 v10, vcc_lo, v21, v10
	v_add_co_ci_u32_e32 v11, vcc_lo, v22, v11, vcc_lo
	v_add_co_u32 v12, vcc_lo, v21, v12
	v_add_nc_u32_e32 v16, 27, v14
	v_mov_b32_e32 v17, v15
	v_add_co_ci_u32_e32 v13, vcc_lo, v22, v13, vcc_lo
	s_waitcnt lgkmcnt(1)
	global_store_dwordx2 v[8:9], v[0:1], off
	global_store_dwordx2 v[10:11], v[2:3], off
	s_waitcnt lgkmcnt(0)
	global_store_dwordx2 v[12:13], v[4:5], off
	v_lshlrev_b64 v[0:1], 3, v[16:17]
	v_add_nc_u32_e32 v4, 36, v14
	v_mov_b32_e32 v5, v15
	v_add_nc_u32_e32 v8, 45, v14
	v_mov_b32_e32 v9, v15
	v_add_nc_u32_e32 v18, 54, v14
	v_add_co_u32 v12, vcc_lo, v21, v0
	v_add_co_ci_u32_e32 v13, vcc_lo, v22, v1, vcc_lo
	ds_read2_b64 v[0:3], v20 offset0:36 offset1:45
	v_lshlrev_b64 v[4:5], 3, v[4:5]
	v_lshlrev_b64 v[16:17], 3, v[8:9]
	v_mov_b32_e32 v19, v15
	ds_read2_b64 v[8:11], v20 offset0:54 offset1:63
	v_add_nc_u32_e32 v14, 63, v14
	v_add_co_u32 v4, vcc_lo, v21, v4
	v_lshlrev_b64 v[18:19], 3, v[18:19]
	v_add_co_ci_u32_e32 v5, vcc_lo, v22, v5, vcc_lo
	v_add_co_u32 v16, vcc_lo, v21, v16
	v_lshlrev_b64 v[14:15], 3, v[14:15]
	v_add_co_ci_u32_e32 v17, vcc_lo, v22, v17, vcc_lo
	v_add_co_u32 v18, vcc_lo, v21, v18
	v_add_co_ci_u32_e32 v19, vcc_lo, v22, v19, vcc_lo
	v_add_co_u32 v14, vcc_lo, v21, v14
	v_add_co_ci_u32_e32 v15, vcc_lo, v22, v15, vcc_lo
	global_store_dwordx2 v[12:13], v[6:7], off
	s_waitcnt lgkmcnt(1)
	global_store_dwordx2 v[4:5], v[0:1], off
	global_store_dwordx2 v[16:17], v[2:3], off
	s_waitcnt lgkmcnt(0)
	global_store_dwordx2 v[18:19], v[8:9], off
	global_store_dwordx2 v[14:15], v[10:11], off
.LBB0_26:
	s_endpgm
	.section	.rodata,"a",@progbits
	.p2align	6, 0x0
	.amdhsa_kernel fft_rtc_fwd_len72_factors_8_3_3_wgs_63_tpt_9_halfLds_sp_ip_CI_unitstride_sbrr_C2R_dirReg
		.amdhsa_group_segment_fixed_size 0
		.amdhsa_private_segment_fixed_size 0
		.amdhsa_kernarg_size 88
		.amdhsa_user_sgpr_count 6
		.amdhsa_user_sgpr_private_segment_buffer 1
		.amdhsa_user_sgpr_dispatch_ptr 0
		.amdhsa_user_sgpr_queue_ptr 0
		.amdhsa_user_sgpr_kernarg_segment_ptr 1
		.amdhsa_user_sgpr_dispatch_id 0
		.amdhsa_user_sgpr_flat_scratch_init 0
		.amdhsa_user_sgpr_private_segment_size 0
		.amdhsa_wavefront_size32 1
		.amdhsa_uses_dynamic_stack 0
		.amdhsa_system_sgpr_private_segment_wavefront_offset 0
		.amdhsa_system_sgpr_workgroup_id_x 1
		.amdhsa_system_sgpr_workgroup_id_y 0
		.amdhsa_system_sgpr_workgroup_id_z 0
		.amdhsa_system_sgpr_workgroup_info 0
		.amdhsa_system_vgpr_workitem_id 0
		.amdhsa_next_free_vgpr 45
		.amdhsa_next_free_sgpr 21
		.amdhsa_reserve_vcc 1
		.amdhsa_reserve_flat_scratch 0
		.amdhsa_float_round_mode_32 0
		.amdhsa_float_round_mode_16_64 0
		.amdhsa_float_denorm_mode_32 3
		.amdhsa_float_denorm_mode_16_64 3
		.amdhsa_dx10_clamp 1
		.amdhsa_ieee_mode 1
		.amdhsa_fp16_overflow 0
		.amdhsa_workgroup_processor_mode 1
		.amdhsa_memory_ordered 1
		.amdhsa_forward_progress 0
		.amdhsa_shared_vgpr_count 0
		.amdhsa_exception_fp_ieee_invalid_op 0
		.amdhsa_exception_fp_denorm_src 0
		.amdhsa_exception_fp_ieee_div_zero 0
		.amdhsa_exception_fp_ieee_overflow 0
		.amdhsa_exception_fp_ieee_underflow 0
		.amdhsa_exception_fp_ieee_inexact 0
		.amdhsa_exception_int_div_zero 0
	.end_amdhsa_kernel
	.text
.Lfunc_end0:
	.size	fft_rtc_fwd_len72_factors_8_3_3_wgs_63_tpt_9_halfLds_sp_ip_CI_unitstride_sbrr_C2R_dirReg, .Lfunc_end0-fft_rtc_fwd_len72_factors_8_3_3_wgs_63_tpt_9_halfLds_sp_ip_CI_unitstride_sbrr_C2R_dirReg
                                        ; -- End function
	.section	.AMDGPU.csdata,"",@progbits
; Kernel info:
; codeLenInByte = 4256
; NumSgprs: 23
; NumVgprs: 45
; ScratchSize: 0
; MemoryBound: 0
; FloatMode: 240
; IeeeMode: 1
; LDSByteSize: 0 bytes/workgroup (compile time only)
; SGPRBlocks: 2
; VGPRBlocks: 5
; NumSGPRsForWavesPerEU: 23
; NumVGPRsForWavesPerEU: 45
; Occupancy: 16
; WaveLimiterHint : 1
; COMPUTE_PGM_RSRC2:SCRATCH_EN: 0
; COMPUTE_PGM_RSRC2:USER_SGPR: 6
; COMPUTE_PGM_RSRC2:TRAP_HANDLER: 0
; COMPUTE_PGM_RSRC2:TGID_X_EN: 1
; COMPUTE_PGM_RSRC2:TGID_Y_EN: 0
; COMPUTE_PGM_RSRC2:TGID_Z_EN: 0
; COMPUTE_PGM_RSRC2:TIDIG_COMP_CNT: 0
	.text
	.p2alignl 6, 3214868480
	.fill 48, 4, 3214868480
	.type	__hip_cuid_6bba0adb634592ec,@object ; @__hip_cuid_6bba0adb634592ec
	.section	.bss,"aw",@nobits
	.globl	__hip_cuid_6bba0adb634592ec
__hip_cuid_6bba0adb634592ec:
	.byte	0                               ; 0x0
	.size	__hip_cuid_6bba0adb634592ec, 1

	.ident	"AMD clang version 19.0.0git (https://github.com/RadeonOpenCompute/llvm-project roc-6.4.0 25133 c7fe45cf4b819c5991fe208aaa96edf142730f1d)"
	.section	".note.GNU-stack","",@progbits
	.addrsig
	.addrsig_sym __hip_cuid_6bba0adb634592ec
	.amdgpu_metadata
---
amdhsa.kernels:
  - .args:
      - .actual_access:  read_only
        .address_space:  global
        .offset:         0
        .size:           8
        .value_kind:     global_buffer
      - .offset:         8
        .size:           8
        .value_kind:     by_value
      - .actual_access:  read_only
        .address_space:  global
        .offset:         16
        .size:           8
        .value_kind:     global_buffer
      - .actual_access:  read_only
        .address_space:  global
        .offset:         24
        .size:           8
        .value_kind:     global_buffer
      - .offset:         32
        .size:           8
        .value_kind:     by_value
      - .actual_access:  read_only
        .address_space:  global
        .offset:         40
        .size:           8
        .value_kind:     global_buffer
      - .actual_access:  read_only
        .address_space:  global
        .offset:         48
        .size:           8
        .value_kind:     global_buffer
      - .offset:         56
        .size:           4
        .value_kind:     by_value
      - .actual_access:  read_only
        .address_space:  global
        .offset:         64
        .size:           8
        .value_kind:     global_buffer
      - .actual_access:  read_only
        .address_space:  global
        .offset:         72
        .size:           8
        .value_kind:     global_buffer
      - .address_space:  global
        .offset:         80
        .size:           8
        .value_kind:     global_buffer
    .group_segment_fixed_size: 0
    .kernarg_segment_align: 8
    .kernarg_segment_size: 88
    .language:       OpenCL C
    .language_version:
      - 2
      - 0
    .max_flat_workgroup_size: 63
    .name:           fft_rtc_fwd_len72_factors_8_3_3_wgs_63_tpt_9_halfLds_sp_ip_CI_unitstride_sbrr_C2R_dirReg
    .private_segment_fixed_size: 0
    .sgpr_count:     23
    .sgpr_spill_count: 0
    .symbol:         fft_rtc_fwd_len72_factors_8_3_3_wgs_63_tpt_9_halfLds_sp_ip_CI_unitstride_sbrr_C2R_dirReg.kd
    .uniform_work_group_size: 1
    .uses_dynamic_stack: false
    .vgpr_count:     45
    .vgpr_spill_count: 0
    .wavefront_size: 32
    .workgroup_processor_mode: 1
amdhsa.target:   amdgcn-amd-amdhsa--gfx1030
amdhsa.version:
  - 1
  - 2
...

	.end_amdgpu_metadata
